;; amdgpu-corpus repo=ROCm/rocFFT kind=compiled arch=gfx950 opt=O3
	.text
	.amdgcn_target "amdgcn-amd-amdhsa--gfx950"
	.amdhsa_code_object_version 6
	.protected	fft_rtc_fwd_len693_factors_11_7_9_wgs_99_tpt_99_halfLds_sp_ip_CI_sbrr_dirReg ; -- Begin function fft_rtc_fwd_len693_factors_11_7_9_wgs_99_tpt_99_halfLds_sp_ip_CI_sbrr_dirReg
	.globl	fft_rtc_fwd_len693_factors_11_7_9_wgs_99_tpt_99_halfLds_sp_ip_CI_sbrr_dirReg
	.p2align	8
	.type	fft_rtc_fwd_len693_factors_11_7_9_wgs_99_tpt_99_halfLds_sp_ip_CI_sbrr_dirReg,@function
fft_rtc_fwd_len693_factors_11_7_9_wgs_99_tpt_99_halfLds_sp_ip_CI_sbrr_dirReg: ; @fft_rtc_fwd_len693_factors_11_7_9_wgs_99_tpt_99_halfLds_sp_ip_CI_sbrr_dirReg
; %bb.0:
	s_load_dwordx2 s[12:13], s[0:1], 0x18
	s_load_dwordx4 s[4:7], s[0:1], 0x0
	s_load_dwordx2 s[10:11], s[0:1], 0x50
	v_mul_u32_u24_e32 v1, 0x296, v0
	v_add_u32_sdwa v6, s2, v1 dst_sel:DWORD dst_unused:UNUSED_PAD src0_sel:DWORD src1_sel:WORD_1
	s_waitcnt lgkmcnt(0)
	s_load_dwordx2 s[8:9], s[12:13], 0x0
	v_mov_b32_e32 v4, 0
	v_cmp_lt_u64_e64 s[2:3], s[6:7], 2
	v_mov_b32_e32 v7, v4
	s_and_b64 vcc, exec, s[2:3]
	v_mov_b64_e32 v[2:3], 0
	s_cbranch_vccnz .LBB0_8
; %bb.1:
	s_load_dwordx2 s[2:3], s[0:1], 0x10
	s_add_u32 s14, s12, 8
	s_addc_u32 s15, s13, 0
	s_mov_b64 s[16:17], 1
	v_mov_b64_e32 v[2:3], 0
	s_waitcnt lgkmcnt(0)
	s_add_u32 s18, s2, 8
	s_addc_u32 s19, s3, 0
.LBB0_2:                                ; =>This Inner Loop Header: Depth=1
	s_load_dwordx2 s[20:21], s[18:19], 0x0
                                        ; implicit-def: $vgpr8_vgpr9
	s_waitcnt lgkmcnt(0)
	v_or_b32_e32 v5, s21, v7
	v_cmp_ne_u64_e32 vcc, 0, v[4:5]
	s_and_saveexec_b64 s[2:3], vcc
	s_xor_b64 s[22:23], exec, s[2:3]
	s_cbranch_execz .LBB0_4
; %bb.3:                                ;   in Loop: Header=BB0_2 Depth=1
	v_cvt_f32_u32_e32 v1, s20
	v_cvt_f32_u32_e32 v5, s21
	s_sub_u32 s2, 0, s20
	s_subb_u32 s3, 0, s21
	v_fmac_f32_e32 v1, 0x4f800000, v5
	v_rcp_f32_e32 v1, v1
	s_nop 0
	v_mul_f32_e32 v1, 0x5f7ffffc, v1
	v_mul_f32_e32 v5, 0x2f800000, v1
	v_trunc_f32_e32 v5, v5
	v_fmac_f32_e32 v1, 0xcf800000, v5
	v_cvt_u32_f32_e32 v5, v5
	v_cvt_u32_f32_e32 v1, v1
	v_mul_lo_u32 v8, s2, v5
	v_mul_hi_u32 v10, s2, v1
	v_mul_lo_u32 v9, s3, v1
	v_add_u32_e32 v10, v10, v8
	v_mul_lo_u32 v12, s2, v1
	v_add_u32_e32 v13, v10, v9
	v_mul_hi_u32 v8, v1, v12
	v_mul_hi_u32 v11, v1, v13
	v_mul_lo_u32 v10, v1, v13
	v_mov_b32_e32 v9, v4
	v_lshl_add_u64 v[8:9], v[8:9], 0, v[10:11]
	v_mul_hi_u32 v11, v5, v12
	v_mul_lo_u32 v12, v5, v12
	v_add_co_u32_e32 v8, vcc, v8, v12
	v_mul_hi_u32 v10, v5, v13
	s_nop 0
	v_addc_co_u32_e32 v8, vcc, v9, v11, vcc
	v_mov_b32_e32 v9, v4
	s_nop 0
	v_addc_co_u32_e32 v11, vcc, 0, v10, vcc
	v_mul_lo_u32 v10, v5, v13
	v_lshl_add_u64 v[8:9], v[8:9], 0, v[10:11]
	v_add_co_u32_e32 v1, vcc, v1, v8
	v_mul_lo_u32 v10, s2, v1
	s_nop 0
	v_addc_co_u32_e32 v5, vcc, v5, v9, vcc
	v_mul_lo_u32 v8, s2, v5
	v_mul_hi_u32 v9, s2, v1
	v_add_u32_e32 v8, v9, v8
	v_mul_lo_u32 v9, s3, v1
	v_add_u32_e32 v12, v8, v9
	v_mul_hi_u32 v14, v5, v10
	v_mul_lo_u32 v15, v5, v10
	v_mul_hi_u32 v9, v1, v12
	v_mul_lo_u32 v8, v1, v12
	v_mul_hi_u32 v10, v1, v10
	v_mov_b32_e32 v11, v4
	v_lshl_add_u64 v[8:9], v[10:11], 0, v[8:9]
	v_add_co_u32_e32 v8, vcc, v8, v15
	v_mul_hi_u32 v13, v5, v12
	s_nop 0
	v_addc_co_u32_e32 v8, vcc, v9, v14, vcc
	v_mul_lo_u32 v10, v5, v12
	s_nop 0
	v_addc_co_u32_e32 v11, vcc, 0, v13, vcc
	v_mov_b32_e32 v9, v4
	v_lshl_add_u64 v[8:9], v[8:9], 0, v[10:11]
	v_add_co_u32_e32 v1, vcc, v1, v8
	v_mul_hi_u32 v10, v6, v1
	s_nop 0
	v_addc_co_u32_e32 v5, vcc, v5, v9, vcc
	v_mad_u64_u32 v[8:9], s[2:3], v6, v5, 0
	v_mov_b32_e32 v11, v4
	v_lshl_add_u64 v[8:9], v[10:11], 0, v[8:9]
	v_mad_u64_u32 v[12:13], s[2:3], v7, v1, 0
	v_add_co_u32_e32 v1, vcc, v8, v12
	v_mad_u64_u32 v[10:11], s[2:3], v7, v5, 0
	s_nop 0
	v_addc_co_u32_e32 v8, vcc, v9, v13, vcc
	v_mov_b32_e32 v9, v4
	s_nop 0
	v_addc_co_u32_e32 v11, vcc, 0, v11, vcc
	v_lshl_add_u64 v[8:9], v[8:9], 0, v[10:11]
	v_mul_lo_u32 v1, s21, v8
	v_mul_lo_u32 v5, s20, v9
	v_mad_u64_u32 v[10:11], s[2:3], s20, v8, 0
	v_add3_u32 v1, v11, v5, v1
	v_sub_u32_e32 v5, v7, v1
	v_mov_b32_e32 v11, s21
	v_sub_co_u32_e32 v14, vcc, v6, v10
	v_lshl_add_u64 v[12:13], v[8:9], 0, 1
	s_nop 0
	v_subb_co_u32_e64 v5, s[2:3], v5, v11, vcc
	v_subrev_co_u32_e64 v10, s[2:3], s20, v14
	v_subb_co_u32_e32 v1, vcc, v7, v1, vcc
	s_nop 0
	v_subbrev_co_u32_e64 v5, s[2:3], 0, v5, s[2:3]
	v_cmp_le_u32_e64 s[2:3], s21, v5
	v_cmp_le_u32_e32 vcc, s21, v1
	s_nop 0
	v_cndmask_b32_e64 v11, 0, -1, s[2:3]
	v_cmp_le_u32_e64 s[2:3], s20, v10
	s_nop 1
	v_cndmask_b32_e64 v10, 0, -1, s[2:3]
	v_cmp_eq_u32_e64 s[2:3], s21, v5
	s_nop 1
	v_cndmask_b32_e64 v5, v11, v10, s[2:3]
	v_lshl_add_u64 v[10:11], v[8:9], 0, 2
	v_cmp_ne_u32_e64 s[2:3], 0, v5
	s_nop 1
	v_cndmask_b32_e64 v5, v13, v11, s[2:3]
	v_cndmask_b32_e64 v11, 0, -1, vcc
	v_cmp_le_u32_e32 vcc, s20, v14
	s_nop 1
	v_cndmask_b32_e64 v13, 0, -1, vcc
	v_cmp_eq_u32_e32 vcc, s21, v1
	s_nop 1
	v_cndmask_b32_e32 v1, v11, v13, vcc
	v_cmp_ne_u32_e32 vcc, 0, v1
	v_cndmask_b32_e64 v1, v12, v10, s[2:3]
	s_nop 0
	v_cndmask_b32_e32 v9, v9, v5, vcc
	v_cndmask_b32_e32 v8, v8, v1, vcc
.LBB0_4:                                ;   in Loop: Header=BB0_2 Depth=1
	s_andn2_saveexec_b64 s[2:3], s[22:23]
	s_cbranch_execz .LBB0_6
; %bb.5:                                ;   in Loop: Header=BB0_2 Depth=1
	v_cvt_f32_u32_e32 v1, s20
	s_sub_i32 s22, 0, s20
	v_rcp_iflag_f32_e32 v1, v1
	s_nop 0
	v_mul_f32_e32 v1, 0x4f7ffffe, v1
	v_cvt_u32_f32_e32 v1, v1
	v_mul_lo_u32 v5, s22, v1
	v_mul_hi_u32 v5, v1, v5
	v_add_u32_e32 v1, v1, v5
	v_mul_hi_u32 v1, v6, v1
	v_mul_lo_u32 v5, v1, s20
	v_sub_u32_e32 v5, v6, v5
	v_add_u32_e32 v8, 1, v1
	v_subrev_u32_e32 v9, s20, v5
	v_cmp_le_u32_e32 vcc, s20, v5
	s_nop 1
	v_cndmask_b32_e32 v5, v5, v9, vcc
	v_cndmask_b32_e32 v1, v1, v8, vcc
	v_add_u32_e32 v8, 1, v1
	v_cmp_le_u32_e32 vcc, s20, v5
	v_mov_b32_e32 v9, v4
	s_nop 0
	v_cndmask_b32_e32 v8, v1, v8, vcc
.LBB0_6:                                ;   in Loop: Header=BB0_2 Depth=1
	s_or_b64 exec, exec, s[2:3]
	v_mad_u64_u32 v[10:11], s[2:3], v8, s20, 0
	s_load_dwordx2 s[2:3], s[14:15], 0x0
	v_mul_lo_u32 v1, v9, s20
	v_mul_lo_u32 v5, v8, s21
	v_add3_u32 v1, v11, v5, v1
	v_sub_co_u32_e32 v5, vcc, v6, v10
	s_add_u32 s16, s16, 1
	s_nop 0
	v_subb_co_u32_e32 v1, vcc, v7, v1, vcc
	s_addc_u32 s17, s17, 0
	s_waitcnt lgkmcnt(0)
	v_mul_lo_u32 v1, s2, v1
	v_mul_lo_u32 v6, s3, v5
	v_mad_u64_u32 v[2:3], s[2:3], s2, v5, v[2:3]
	s_add_u32 s14, s14, 8
	v_add3_u32 v3, v6, v3, v1
	s_addc_u32 s15, s15, 0
	v_mov_b64_e32 v[6:7], s[6:7]
	s_add_u32 s18, s18, 8
	v_cmp_ge_u64_e32 vcc, s[16:17], v[6:7]
	s_addc_u32 s19, s19, 0
	s_cbranch_vccnz .LBB0_9
; %bb.7:                                ;   in Loop: Header=BB0_2 Depth=1
	v_mov_b64_e32 v[6:7], v[8:9]
	s_branch .LBB0_2
.LBB0_8:
	v_mov_b64_e32 v[8:9], v[6:7]
.LBB0_9:
	s_lshl_b64 s[2:3], s[6:7], 3
	s_add_u32 s2, s12, s2
	s_addc_u32 s3, s13, s3
	s_load_dwordx2 s[6:7], s[2:3], 0x0
	s_load_dwordx2 s[12:13], s[0:1], 0x20
	v_mov_b32_e32 v11, 0
	v_mov_b32_e32 v29, 0
                                        ; implicit-def: $vgpr26
                                        ; implicit-def: $vgpr18
                                        ; implicit-def: $vgpr24
                                        ; implicit-def: $vgpr16
                                        ; implicit-def: $vgpr30
                                        ; implicit-def: $vgpr6
                                        ; implicit-def: $vgpr32
                                        ; implicit-def: $vgpr14
                                        ; implicit-def: $vgpr12
	s_waitcnt lgkmcnt(0)
	v_mad_u64_u32 v[2:3], s[0:1], s6, v8, v[2:3]
	v_mul_lo_u32 v1, s6, v9
	v_mul_lo_u32 v4, s7, v8
	s_mov_b32 s0, 0x295fad5
	v_add3_u32 v3, v4, v3, v1
	v_mul_hi_u32 v1, v0, s0
	v_mul_u32_u24_e32 v1, 0x63, v1
	v_sub_u32_e32 v62, v0, v1
	v_cmp_gt_u64_e32 vcc, s[12:13], v[8:9]
	v_cmp_gt_u32_e64 s[0:1], 63, v62
	s_and_b64 s[6:7], vcc, s[0:1]
	v_lshl_add_u64 v[0:1], v[2:3], 3, s[10:11]
                                        ; implicit-def: $vgpr4
                                        ; implicit-def: $vgpr8
	s_and_saveexec_b64 s[2:3], s[6:7]
	s_cbranch_execz .LBB0_11
; %bb.10:
	v_mad_u64_u32 v[2:3], s[6:7], s8, v62, 0
	v_mov_b32_e32 v4, v3
	v_mad_u64_u32 v[4:5], s[6:7], s9, v62, v[4:5]
	v_add_u32_e32 v7, 63, v62
	v_mov_b32_e32 v3, v4
	v_mad_u64_u32 v[4:5], s[6:7], s8, v7, 0
	v_mov_b32_e32 v6, v5
	v_mad_u64_u32 v[6:7], s[6:7], s9, v7, v[6:7]
	v_mov_b32_e32 v5, v6
	v_add_u32_e32 v9, 0x7e, v62
	v_lshl_add_u64 v[6:7], v[4:5], 3, v[0:1]
	v_mad_u64_u32 v[4:5], s[6:7], s8, v9, 0
	v_mov_b32_e32 v8, v5
	v_mad_u64_u32 v[8:9], s[6:7], s9, v9, v[8:9]
	v_mov_b32_e32 v5, v8
	v_add_u32_e32 v11, 0xbd, v62
	v_lshl_add_u64 v[8:9], v[4:5], 3, v[0:1]
	v_mad_u64_u32 v[4:5], s[6:7], s8, v11, 0
	v_mov_b32_e32 v10, v5
	v_mad_u64_u32 v[10:11], s[6:7], s9, v11, v[10:11]
	v_lshl_add_u64 v[2:3], v[2:3], 3, v[0:1]
	v_mov_b32_e32 v5, v10
	v_lshl_add_u64 v[10:11], v[4:5], 3, v[0:1]
	global_load_dwordx2 v[14:15], v[2:3], off
	global_load_dwordx2 v[18:19], v[6:7], off
	;; [unrolled: 1-line block ×4, first 2 shown]
	v_add_u32_e32 v7, 0xfc, v62
	v_mad_u64_u32 v[2:3], s[6:7], s8, v7, 0
	v_mov_b32_e32 v6, v3
	v_mad_u64_u32 v[6:7], s[6:7], s9, v7, v[6:7]
	v_add_u32_e32 v9, 0x13b, v62
	v_mov_b32_e32 v3, v6
	v_mad_u64_u32 v[6:7], s[6:7], s8, v9, 0
	v_mov_b32_e32 v8, v7
	v_mad_u64_u32 v[8:9], s[6:7], s9, v9, v[8:9]
	v_mov_b32_e32 v7, v8
	v_add_u32_e32 v11, 0x17a, v62
	v_lshl_add_u64 v[8:9], v[6:7], 3, v[0:1]
	v_mad_u64_u32 v[6:7], s[6:7], s8, v11, 0
	v_mov_b32_e32 v10, v7
	v_add_u32_e32 v21, 0x1b9, v62
	v_mad_u64_u32 v[10:11], s[6:7], s9, v11, v[10:11]
	v_mad_u64_u32 v[12:13], s[6:7], s8, v21, 0
	v_mov_b32_e32 v7, v10
	v_mov_b32_e32 v20, v13
	v_add_u32_e32 v13, 0x1f8, v62
	v_lshl_add_u64 v[10:11], v[6:7], 3, v[0:1]
	v_mad_u64_u32 v[6:7], s[6:7], s8, v13, 0
	v_mov_b32_e32 v16, v7
	v_mad_u64_u32 v[16:17], s[6:7], s9, v13, v[16:17]
	v_mov_b32_e32 v7, v16
	v_add_u32_e32 v13, 0x237, v62
	v_lshl_add_u64 v[22:23], v[6:7], 3, v[0:1]
	v_mad_u64_u32 v[6:7], s[6:7], s8, v13, 0
	v_mov_b32_e32 v16, v7
	v_mad_u64_u32 v[16:17], s[6:7], s9, v13, v[16:17]
	;; [unrolled: 6-line block ×3, first 2 shown]
	v_lshl_add_u64 v[2:3], v[2:3], 3, v[0:1]
	v_mov_b32_e32 v7, v16
	v_lshl_add_u64 v[36:37], v[6:7], 3, v[0:1]
	global_load_dwordx2 v[32:33], v[22:23], off
	global_load_dwordx2 v[6:7], v[34:35], off
	;; [unrolled: 1-line block ×6, first 2 shown]
	v_mad_u64_u32 v[2:3], s[6:7], s9, v21, v[20:21]
	v_mov_b32_e32 v13, v2
	v_lshl_add_u64 v[2:3], v[12:13], 3, v[0:1]
	global_load_dwordx2 v[12:13], v[2:3], off
	s_waitcnt vmcnt(10)
	v_mov_b32_e32 v11, v15
	s_waitcnt vmcnt(7)
	v_mov_b32_e32 v8, v5
	;; [unrolled: 2-line block ×4, first 2 shown]
	v_mov_b32_e32 v29, v14
	v_mov_b32_e32 v14, v33
.LBB0_11:
	s_or_b64 exec, exec, s[2:3]
	s_mov_b32 s2, 0xbf27a4f4
	v_add_f32_e32 v60, v18, v26
	s_mov_b32 s3, 0xbe11bafb
	s_mov_b32 s16, 0xbf4178ce
	v_pk_add_f32 v[46:47], v[18:19], v[8:9] neg_lo:[0,1] neg_hi:[0,1]
	v_pk_add_f32 v[36:37], v[24:25], v[6:7]
	v_mov_b32_e32 v2, v31
	v_pk_mul_f32 v[50:51], v[60:61], s[2:3] op_sel_hi:[0,1]
	s_mov_b32 s17, 0xbf7d64f0
	s_mov_b32 s7, 0xbf75a155
	;; [unrolled: 1-line block ×5, first 2 shown]
	v_pk_add_f32 v[22:23], v[24:25], v[6:7] neg_lo:[0,1] neg_hi:[0,1]
	v_add_f32_e32 v54, v4, v32
	v_mov_b32_e32 v15, v14
	v_pk_add_f32 v[40:41], v[2:3], v[10:11] op_sel_hi:[0,1] neg_lo:[0,1] neg_hi:[0,1]
	v_pk_fma_f32 v[2:3], v[46:47], s[16:17], v[50:51] op_sel:[1,0,0]
	v_mov_b32_e32 v38, v29
	v_pk_mul_f32 v[44:45], v[36:37], s[6:7] op_sel_hi:[0,1]
	s_mov_b32 s19, 0x3e903f40
	s_mov_b32 s11, 0x3ed4b147
	;; [unrolled: 1-line block ×3, first 2 shown]
	v_pk_add_f32 v[42:43], v[8:9], v[14:15] op_sel_hi:[1,0] neg_lo:[0,1] neg_hi:[0,1]
	s_waitcnt vmcnt(0)
	v_pk_add_f32 v[34:35], v[16:17], v[12:13]
	v_pk_add_f32 v[2:3], v[38:39], v[2:3] op_sel_hi:[0,1]
	v_pk_fma_f32 v[38:39], v[22:23], s[18:19], v[44:45] op_sel:[1,0,0]
	v_pk_mul_f32 v[58:59], v[54:55], s[10:11] op_sel_hi:[0,1]
	s_mov_b32 s21, 0x3f68dda4
	s_mov_b32 s12, s7
	;; [unrolled: 1-line block ×3, first 2 shown]
	v_pk_add_f32 v[20:21], v[16:17], v[12:13] neg_lo:[0,1] neg_hi:[0,1]
	v_pk_add_f32 v[52:53], v[30:31], v[28:29]
	v_pk_add_f32 v[2:3], v[2:3], v[38:39]
	v_pk_fma_f32 v[38:39], v[42:43], s[20:21], v[58:59] op_sel_hi:[0,1,1]
	v_pk_mul_f32 v[48:49], v[34:35], s[12:13] op_sel_hi:[0,1]
	s_mov_b32 s22, 0xbe903f40
	s_mov_b32 s23, s20
	;; [unrolled: 1-line block ×4, first 2 shown]
	v_pk_add_f32 v[2:3], v[2:3], v[38:39]
	v_pk_fma_f32 v[38:39], v[20:21], s[22:23], v[48:49] op_sel:[1,0,0]
	v_pk_mul_f32 v[56:57], v[52:53], s[14:15] op_sel_hi:[0,1]
	s_mov_b32 s24, s21
	s_mov_b32 s25, s16
	v_pk_add_f32 v[2:3], v[2:3], v[38:39]
	v_pk_fma_f32 v[38:39], v[40:41], s[24:25], v[56:57] op_sel_hi:[0,1,1]
	v_pk_add_f32 v[2:3], v[2:3], v[38:39]
	v_mov_b32_e32 v38, v31
	v_mov_b32_e32 v39, v31
	s_and_saveexec_b64 s[26:27], s[0:1]
	s_cbranch_execz .LBB0_13
; %bb.12:
	v_add_f32_e32 v5, v29, v18
	v_mov_b32_e32 v61, v60
	s_mov_b32 s28, s11
	s_mov_b32 s29, s10
	v_add_f32_e32 v5, v5, v24
	v_mov_b32_e32 v64, v47
	v_mov_b32_e32 v65, v47
	v_pk_mul_f32 v[66:67], v[60:61], s[28:29]
	s_mov_b32 s28, 0xbf68dda4
	s_mov_b32 s29, s20
	v_add_f32_e32 v5, v5, v4
	v_mov_b32_e32 v70, v36
	v_mov_b32_e32 v71, v36
	s_mov_b32 s34, s2
	s_mov_b32 s35, s11
	v_pk_fma_f32 v[68:69], v[64:65], s[28:29], v[66:67] neg_lo:[1,0,0] neg_hi:[1,0,0]
	v_add_f32_e32 v5, v5, v16
	v_mov_b32_e32 v72, v23
	v_mov_b32_e32 v73, v23
	s_mov_b32 s30, s16
	s_mov_b32 s31, s28
	v_pk_mul_f32 v[74:75], v[70:71], s[34:35]
	v_add_f32_e32 v68, v5, v30
	v_pk_fma_f32 v[76:77], v[72:73], s[30:31], v[74:75] neg_lo:[1,0,0] neg_hi:[1,0,0]
	v_pk_add_f32 v[68:69], v[68:69], v[28:29]
	v_mov_b32_e32 v76, v12
	v_mov_b32_e32 v55, v54
	s_mov_b32 s36, s7
	s_mov_b32 s37, s3
	v_pk_add_f32 v[68:69], v[76:77], v[68:69]
	v_mov_b32_e32 v76, v42
	v_mov_b32_e32 v77, v42
	s_mov_b32 s34, s19
	s_mov_b32 s35, s17
	v_pk_mul_f32 v[78:79], v[54:55], s[36:37]
	s_mov_b32 s38, s3
	v_pk_fma_f32 v[80:81], v[76:77], s[34:35], v[78:79] neg_lo:[1,0,0] neg_hi:[1,0,0]
	s_mov_b32 s39, s2
	v_mov_b32_e32 v33, v81
	v_mov_b32_e32 v80, v34
	;; [unrolled: 1-line block ×5, first 2 shown]
	s_mov_b32 s36, s18
	s_mov_b32 s37, s16
	v_pk_mul_f32 v[84:85], v[80:81], s[38:39]
	v_pk_add_f32 v[68:69], v[32:33], v[68:69]
	v_pk_fma_f32 v[86:87], v[82:83], s[36:37], v[84:85] neg_lo:[1,0,0] neg_hi:[1,0,0]
	v_mov_b32_e32 v53, v52
	v_mov_b32_e32 v86, v6
	s_mov_b32 s40, s10
	s_mov_b32 s41, s7
	v_pk_add_f32 v[68:69], v[86:87], v[68:69]
	v_mov_b32_e32 v86, v40
	v_mov_b32_e32 v87, v40
	s_mov_b32 s38, 0x3f0a6770
	s_mov_b32 s39, s22
	v_pk_mul_f32 v[88:89], v[52:53], s[40:41]
	v_mad_u32_u24 v5, v62, 44, 0
	v_pk_fma_f32 v[90:91], v[86:87], s[38:39], v[88:89] neg_lo:[1,0,0] neg_hi:[1,0,0]
	s_mov_b32 s42, s21
	v_mov_b32_e32 v27, v91
	v_pk_add_f32 v[68:69], v[26:27], v[68:69]
	s_mov_b32 s43, s18
	ds_write2_b32 v5, v68, v69 offset1:1
	s_mov_b32 s40, s11
	s_mov_b32 s41, s3
	v_pk_mul_f32 v[68:69], v[64:65], s[42:43]
	s_mov_b32 s42, 0x3f4178ce
	s_mov_b32 s43, s22
	v_mul_f32_e32 v51, 0xbf75a155, v60
	v_pk_fma_f32 v[60:61], v[60:61], s[40:41], v[68:69]
	s_mov_b32 s40, s2
	s_mov_b32 s41, s7
	v_pk_mul_f32 v[68:69], v[72:73], s[42:43]
	s_mov_b32 s44, s22
	v_pk_fma_f32 v[68:69], v[70:71], s[40:41], v[68:69]
	v_mov_b32_e32 v70, v29
	v_mov_b32_e32 v71, v29
	v_pk_add_f32 v[60:61], v[70:71], v[60:61]
	s_mov_b32 s45, s28
	v_pk_add_f32 v[60:61], v[60:61], v[68:69]
	s_mov_b32 s40, s7
	s_mov_b32 s41, s11
	v_pk_mul_f32 v[68:69], v[76:77], s[44:45]
	v_mul_f32_e32 v59, 0xbf27a4f4, v54
	v_pk_fma_f32 v[54:55], v[54:55], s[40:41], v[68:69]
	s_mov_b32 s44, s17
	s_mov_b32 s45, s38
	v_pk_add_f32 v[54:55], v[60:61], v[54:55]
	s_mov_b32 s40, s3
	s_mov_b32 s41, s10
	v_pk_mul_f32 v[60:61], v[82:83], s[44:45]
	s_mov_b32 s44, s20
	v_pk_fma_f32 v[60:61], v[80:81], s[40:41], v[60:61]
	s_mov_b32 s45, s42
	v_pk_add_f32 v[54:55], v[54:55], v[60:61]
	s_mov_b32 s40, s10
	s_mov_b32 s41, s2
	v_pk_mul_f32 v[60:61], v[86:87], s[44:45]
	v_mul_f32_e32 v57, 0xbe11bafb, v52
	v_pk_fma_f32 v[52:53], v[52:53], s[40:41], v[60:61]
	v_fmamk_f32 v6, v47, 0xbe903f40, v51
	v_pk_add_f32 v[52:53], v[54:55], v[52:53]
	ds_write2_b32 v5, v52, v53 offset0:2 offset1:3
	v_pk_mul_f32 v[52:53], v[46:47], s[16:17] op_sel:[1,0]
	v_mul_f32_e32 v45, 0x3f575c64, v36
	v_mul_f32_e32 v53, 0xbe903f40, v47
	v_pk_add_f32 v[46:47], v[50:51], v[52:53] neg_lo:[0,1] neg_hi:[0,1]
	v_pk_mul_f32 v[50:51], v[22:23], s[18:19] op_sel:[1,0]
	v_pk_add_f32 v[46:47], v[70:71], v[46:47]
	v_mul_f32_e32 v51, 0x3f0a6770, v23
	v_pk_add_f32 v[50:51], v[44:45], v[50:51] neg_lo:[0,1] neg_hi:[0,1]
	v_fmamk_f32 v12, v42, 0xbf4178ce, v59
	v_pk_add_f32 v[46:47], v[46:47], v[50:51]
	v_pk_mul_f32 v[50:51], v[42:43], s[20:21] op_sel_hi:[0,1]
	v_mul_f32_e32 v51, 0xbf4178ce, v42
	v_pk_add_f32 v[42:43], v[58:59], v[50:51] neg_lo:[0,1] neg_hi:[0,1]
	v_mul_f32_e32 v49, 0x3ed4b147, v34
	v_pk_add_f32 v[42:43], v[46:47], v[42:43]
	v_pk_mul_f32 v[46:47], v[20:21], s[22:23] op_sel:[1,0]
	v_fmamk_f32 v27, v23, 0x3f0a6770, v45
	v_mul_f32_e32 v47, 0x3f68dda4, v21
	v_pk_add_f32 v[46:47], v[48:49], v[46:47] neg_lo:[0,1] neg_hi:[0,1]
	v_add_f32_e32 v6, v29, v6
	v_pk_add_f32 v[42:43], v[42:43], v[46:47]
	v_pk_mul_f32 v[46:47], v[40:41], s[24:25] op_sel_hi:[0,1]
	v_mul_f32_e32 v47, 0xbf7d64f0, v40
	v_add_f32_e32 v6, v6, v27
	v_fmamk_f32 v16, v40, 0xbf7d64f0, v57
	v_pk_add_f32 v[40:41], v[56:57], v[46:47] neg_lo:[0,1] neg_hi:[0,1]
	v_add_f32_e32 v6, v6, v12
	v_fmamk_f32 v12, v21, 0x3f68dda4, v49
	v_add_f32_e32 v6, v6, v12
	v_pk_add_f32 v[40:41], v[42:43], v[40:41]
	v_add_f32_e32 v6, v6, v16
	ds_write2_b32 v5, v40, v41 offset0:4 offset1:5
	ds_write_b32 v5, v6 offset:24
	ds_write2_b32 v5, v2, v3 offset0:7 offset1:8
	v_pk_fma_f32 v[40:41], v[64:65], s[28:29], v[66:67]
	v_pk_fma_f32 v[42:43], v[72:73], s[30:31], v[74:75]
	v_pk_add_f32 v[40:41], v[70:71], v[40:41]
	s_nop 0
	v_pk_add_f32 v[40:41], v[40:41], v[42:43]
	v_pk_fma_f32 v[42:43], v[76:77], s[34:35], v[78:79]
	s_nop 0
	v_pk_add_f32 v[40:41], v[40:41], v[42:43]
	v_pk_fma_f32 v[42:43], v[82:83], s[36:37], v[84:85]
	;; [unrolled: 3-line block ×3, first 2 shown]
	s_nop 0
	v_pk_add_f32 v[40:41], v[40:41], v[42:43]
	ds_write2_b32 v5, v40, v41 offset0:9 offset1:10
.LBB0_13:
	s_or_b64 exec, exec, s[26:27]
	v_pk_add_f32 v[40:41], v[10:11], v[18:19]
	v_sub_f32_e32 v50, v18, v26
	v_pk_add_f32 v[24:25], v[40:41], v[24:25]
	v_pk_mul_f32 v[44:45], v[50:51], s[16:17] op_sel_hi:[0,1]
	v_mov_b32_e32 v18, v25
	v_pk_add_f32 v[52:53], v[18:19], v[8:9]
	v_sub_f32_e32 v48, v4, v32
	v_pk_fma_f32 v[4:5], v[52:53], s[2:3], v[44:45] op_sel:[1,0,0] neg_lo:[0,0,1] neg_hi:[0,0,1]
	v_pk_mul_f32 v[42:43], v[22:23], s[18:19] op_sel_hi:[0,1]
	v_pk_add_f32 v[54:55], v[8:9], v[14:15]
	v_pk_add_f32 v[4:5], v[10:11], v[4:5] op_sel:[1,0]
	v_pk_fma_f32 v[18:19], v[36:37], s[6:7], v[42:43] op_sel:[1,0,0] neg_lo:[0,0,1] neg_hi:[0,0,1]
	v_pk_mul_f32 v[40:41], v[48:49], s[20:21] op_sel_hi:[0,1]
	v_pk_add_f32 v[46:47], v[30:31], v[28:29] neg_lo:[0,1] neg_hi:[0,1]
	v_pk_add_f32 v[4:5], v[4:5], v[18:19]
	v_pk_fma_f32 v[18:19], v[54:55], s[10:11], v[40:41] op_sel_hi:[0,1,1] neg_lo:[0,0,1] neg_hi:[0,0,1]
	v_pk_mul_f32 v[30:31], v[20:21], s[22:23] op_sel_hi:[0,1]
	v_lshl_add_u32 v56, v62, 2, 0
	v_pk_add_f32 v[4:5], v[4:5], v[18:19]
	v_pk_fma_f32 v[18:19], v[34:35], s[12:13], v[30:31] op_sel:[1,0,0] neg_lo:[0,0,1] neg_hi:[0,0,1]
	v_add_u32_e32 v8, 0x200, v56
	v_add_u32_e32 v12, 0x400, v56
	v_pk_add_f32 v[4:5], v[4:5], v[18:19]
	s_waitcnt lgkmcnt(0)
	s_barrier
	ds_read2_b32 v[18:19], v56 offset1:99
	ds_read2_b32 v[24:25], v8 offset0:70 offset1:169
	ds_read2_b32 v[26:27], v12 offset0:140 offset1:239
	ds_read_b32 v6, v56 offset:2376
	v_pk_add_f32 v[32:33], v[38:39], v[10:11]
	v_pk_mul_f32 v[28:29], v[46:47], s[24:25] op_sel_hi:[0,1]
	v_pk_fma_f32 v[58:59], v[32:33], s[14:15], v[28:29] op_sel_hi:[0,1,1] neg_lo:[0,0,1] neg_hi:[0,0,1]
	v_pk_add_f32 v[4:5], v[4:5], v[58:59]
	s_waitcnt lgkmcnt(0)
	s_barrier
	s_and_saveexec_b64 s[16:17], s[0:1]
	s_cbranch_execz .LBB0_15
; %bb.14:
	v_pk_mul_f32 v[72:73], v[36:37], s[6:7] op_sel:[1,0]
	v_pk_mul_f32 v[78:79], v[32:33], s[14:15] op_sel_hi:[0,1]
	s_mov_b32 s7, 0x3f575c64
	v_mul_f32_e32 v43, 0x3f0a6770, v22
	v_mov_b32_e32 v16, v17
	s_mov_b32 s14, 0xbf68dda4
	v_mov_b32_e32 v51, v50
	v_mov_b32_e32 v58, v37
	;; [unrolled: 1-line block ×3, first 2 shown]
	v_mul_f32_e32 v45, 0xbe903f40, v50
	v_mul_f32_e32 v73, 0x3f575c64, v37
	v_fma_f32 v15, v37, s7, -v43
	v_pk_add_f32 v[16:17], v[52:53], v[16:17]
	v_pk_mul_f32 v[36:37], v[52:53], s[6:7]
	s_mov_b32 s0, 0xbf75a155
	s_mov_b32 s15, 0xbf0a6770
	v_mov_b32_e32 v23, v22
	v_pk_mul_f32 v[74:75], v[54:55], s[10:11] op_sel_hi:[0,1]
	v_pk_mul_f32 v[76:77], v[34:35], s[12:13] op_sel:[1,0]
	s_mov_b32 s10, 0xbf27a4f4
	s_mov_b32 s12, 0xbf4178ce
	v_mov_b32_e32 v17, v37
	s_mov_b32 s1, 0xbe11bafb
	v_fma_f32 v31, v53, s0, -v45
	v_pk_mul_f32 v[36:37], v[50:51], s[14:15]
	s_mov_b32 s13, s14
	v_mov_b32_e32 v49, v48
	v_pk_mul_f32 v[70:71], v[52:53], s[2:3] op_sel:[1,0]
	s_mov_b32 s11, 0x3ed4b147
	v_mul_f32_e32 v41, 0xbf4178ce, v48
	v_mul_f32_e32 v34, 0x3ed4b147, v53
	;; [unrolled: 1-line block ×3, first 2 shown]
	v_add_f32_e32 v31, v11, v31
	v_pk_mul_f32 v[52:53], v[22:23], s[12:13]
	s_mov_b32 s19, 0xbf7d64f0
	s_mov_b32 s18, 0x3e903f40
	v_mov_b32_e32 v39, v37
	v_mov_b32_e32 v60, v54
	;; [unrolled: 1-line block ×3, first 2 shown]
	v_mul_f32_e32 v75, 0xbf27a4f4, v54
	v_fma_f32 v29, v54, s10, -v41
	v_add_f32_e32 v15, v31, v15
	v_mul_f32_e32 v31, 0x3f68dda4, v20
	v_pk_fma_f32 v[54:55], v[58:59], s[10:11], v[52:53]
	v_pk_mul_f32 v[80:81], v[48:49], s[18:19]
	v_pk_add_f32 v[36:37], v[16:17], v[38:39]
	v_mov_b32_e32 v66, v11
	v_mov_b32_e32 v67, v11
	v_add_f32_e32 v15, v15, v29
	v_fma_f32 v29, v35, s11, -v31
	v_pk_fma_f32 v[82:83], v[60:61], s[0:1], v[80:81]
	v_pk_add_f32 v[10:11], v[36:37], v[10:11]
	v_mov_b32_e32 v54, v13
	v_mov_b32_e32 v64, v35
	;; [unrolled: 1-line block ×3, first 2 shown]
	v_mul_f32_e32 v77, 0x3ed4b147, v35
	v_add_f32_e32 v57, v15, v29
	v_pk_add_f32 v[10:11], v[54:55], v[10:11]
	v_mov_b32_e32 v15, v83
	v_mov_b32_e32 v35, v17
	v_pk_add_f32 v[10:11], v[14:15], v[10:11]
	v_pk_fma_f32 v[14:15], v[50:51], s[14:15], v[34:35] neg_lo:[1,0,0] neg_hi:[1,0,0]
	v_mov_b32_e32 v21, v20
	v_pk_fma_f32 v[52:53], v[58:59], s[10:11], v[52:53] neg_lo:[0,0,1] neg_hi:[0,0,1]
	s_mov_b32 s22, 0x3f7d64f0
	s_mov_b32 s23, s12
	v_pk_add_f32 v[14:15], v[66:67], v[14:15]
	v_pk_fma_f32 v[80:81], v[60:61], s[0:1], v[80:81] neg_lo:[0,0,1] neg_hi:[0,0,1]
	s_mov_b32 s20, s1
	s_mov_b32 s21, s10
	v_pk_mul_f32 v[84:85], v[20:21], s[22:23]
	v_pk_add_f32 v[14:15], v[14:15], v[52:53]
	v_mov_b32_e32 v47, v46
	s_mov_b32 s3, 0xbe903f40
	s_mov_b32 s2, 0x3f0a6770
	v_pk_add_f32 v[14:15], v[14:15], v[80:81]
	v_pk_fma_f32 v[16:17], v[64:65], s[20:21], v[84:85] neg_lo:[0,0,1] neg_hi:[0,0,1]
	v_mov_b32_e32 v68, v32
	v_mov_b32_e32 v69, v32
	v_pk_fma_f32 v[86:87], v[64:65], s[20:21], v[84:85]
	v_pk_add_f32 v[14:15], v[14:15], v[16:17]
	s_mov_b32 s20, s7
	s_mov_b32 s21, s0
	v_pk_mul_f32 v[16:17], v[46:47], s[2:3]
	v_mov_b32_e32 v35, v71
	v_pk_fma_f32 v[36:37], v[68:69], s[20:21], v[16:17]
	v_pk_fma_f32 v[16:17], v[68:69], s[20:21], v[16:17] neg_lo:[0,0,1] neg_hi:[0,0,1]
	s_mov_b32 s20, s14
	s_mov_b32 s21, s19
	;; [unrolled: 1-line block ×4, first 2 shown]
	v_pk_add_f32 v[14:15], v[14:15], v[16:17]
	v_pk_fma_f32 v[16:17], v[50:51], s[20:21], v[34:35]
	s_mov_b32 s20, s10
	s_mov_b32 s21, s0
	v_pk_mul_f32 v[22:23], v[22:23], s[12:13]
	v_pk_add_f32 v[16:17], v[66:67], v[16:17]
	v_pk_fma_f32 v[22:23], v[58:59], s[20:21], v[22:23]
	s_mov_b32 s19, s6
	v_pk_add_f32 v[16:17], v[16:17], v[22:23]
	s_mov_b32 s20, s0
	s_mov_b32 s21, s11
	v_pk_mul_f32 v[22:23], v[48:49], s[18:19]
	s_mov_b32 s23, s15
	v_pk_fma_f32 v[22:23], v[60:61], s[20:21], v[22:23]
	s_mov_b32 s6, s1
	v_pk_mul_f32 v[20:21], v[20:21], s[22:23]
	v_pk_add_f32 v[16:17], v[16:17], v[22:23]
	v_pk_fma_f32 v[20:21], v[64:65], s[6:7], v[20:21]
	s_mov_b32 s3, s12
	v_pk_add_f32 v[16:17], v[16:17], v[20:21]
	s_mov_b32 s6, s7
	s_mov_b32 s7, s10
	v_pk_mul_f32 v[20:21], v[46:47], s[2:3]
	v_mov_b32_e32 v71, v33
	v_pk_fma_f32 v[20:21], v[68:69], s[6:7], v[20:21]
	v_pk_add_f32 v[22:23], v[72:73], v[42:43]
	v_pk_add_f32 v[16:17], v[16:17], v[20:21]
	;; [unrolled: 1-line block ×3, first 2 shown]
	v_mov_b32_e32 v86, v7
	v_pk_add_f32 v[20:21], v[66:67], v[20:21]
	v_pk_add_f32 v[10:11], v[86:87], v[10:11]
	;; [unrolled: 1-line block ×4, first 2 shown]
	v_mov_b32_e32 v36, v9
	v_mul_f32_e32 v79, 0xbe11bafb, v32
	v_mul_f32_e32 v29, 0xbf7d64f0, v46
	v_pk_add_f32 v[20:21], v[20:21], v[22:23]
	v_pk_add_f32 v[22:23], v[76:77], v[30:31]
	;; [unrolled: 1-line block ×5, first 2 shown]
	v_fma_f32 v7, v32, s1, -v29
	v_mad_u32_u24 v9, v62, 40, v56
	v_pk_add_f32 v[20:21], v[20:21], v[22:23]
	v_add_f32_e32 v7, v57, v7
	ds_write2_b32 v9, v10, v11 offset1:1
	ds_write2_b32 v9, v16, v17 offset0:2 offset1:3
	ds_write2_b32 v9, v20, v21 offset0:4 offset1:5
	ds_write_b32 v9, v7 offset:24
	ds_write2_b32 v9, v4, v5 offset0:7 offset1:8
	ds_write2_b32 v9, v14, v15 offset0:9 offset1:10
.LBB0_15:
	s_or_b64 exec, exec, s[16:17]
	s_movk_i32 s0, 0x75
	v_mul_lo_u16_sdwa v7, v62, s0 dst_sel:DWORD dst_unused:UNUSED_PAD src0_sel:BYTE_0 src1_sel:DWORD
	v_sub_u16_sdwa v9, v62, v7 dst_sel:DWORD dst_unused:UNUSED_PAD src0_sel:DWORD src1_sel:BYTE_1
	v_lshrrev_b16_e32 v9, 1, v9
	v_and_b32_e32 v9, 0x7f, v9
	v_add_u16_sdwa v7, v9, v7 dst_sel:DWORD dst_unused:UNUSED_PAD src0_sel:DWORD src1_sel:BYTE_1
	v_lshrrev_b16_e32 v33, 3, v7
	v_mul_lo_u16_e32 v7, 11, v33
	v_sub_u16_e32 v47, v62, v7
	v_mov_b32_e32 v7, 6
	v_mul_u32_u24_sdwa v7, v47, v7 dst_sel:DWORD dst_unused:UNUSED_PAD src0_sel:BYTE_0 src1_sel:DWORD
	v_lshlrev_b32_e32 v7, 3, v7
	s_waitcnt lgkmcnt(0)
	s_barrier
	global_load_dwordx4 v[34:37], v7, s[4:5]
	global_load_dwordx4 v[38:41], v7, s[4:5] offset:16
	global_load_dwordx4 v[20:23], v7, s[4:5] offset:32
	ds_read2_b32 v[16:17], v56 offset1:99
	ds_read2_b32 v[8:9], v8 offset0:70 offset1:169
	ds_read2_b32 v[10:11], v12 offset0:140 offset1:239
	ds_read_b32 v12, v56 offset:2376
	v_mov_b32_e32 v28, v27
	v_mov_b32_e32 v7, v25
	s_waitcnt lgkmcnt(3)
	v_mov_b32_e32 v42, v17
	s_waitcnt lgkmcnt(1)
	v_mov_b32_e32 v44, v11
	v_mov_b32_e32 v46, v11
	;; [unrolled: 1-line block ×6, first 2 shown]
	s_mov_b32 s0, 0x3f5ff5aa
	s_mov_b32 s2, 0xbf08b237
	;; [unrolled: 1-line block ×6, first 2 shown]
	s_waitcnt lgkmcnt(0)
	s_barrier
	s_waitcnt vmcnt(2)
	v_mul_f32_e32 v19, v19, v35
	s_waitcnt vmcnt(1)
	v_mul_f32_e32 v31, v25, v39
	v_mul_f32_e32 v32, v26, v41
	s_waitcnt vmcnt(0)
	v_mul_f32_e32 v30, v6, v23
	v_pk_mul_f32 v[24:25], v[24:25], v[36:37] op_sel_hi:[0,1]
	v_pk_mul_f32 v[28:29], v[28:29], v[20:21] op_sel_hi:[0,1]
	v_mov_b32_e32 v27, v40
	v_mov_b32_e32 v48, v22
	;; [unrolled: 1-line block ×3, first 2 shown]
	v_fmac_f32_e32 v31, v9, v38
	v_fmac_f32_e32 v32, v10, v40
	;; [unrolled: 1-line block ×3, first 2 shown]
	v_mov_b32_e32 v40, v35
	v_mov_b32_e32 v38, v23
	v_pk_fma_f32 v[22:23], v[8:9], v[36:37], v[24:25] op_sel:[0,0,1] op_sel_hi:[1,1,0]
	v_pk_fma_f32 v[8:9], v[8:9], v[36:37], v[24:25] op_sel:[0,0,1] op_sel_hi:[0,1,0] neg_lo:[1,0,0] neg_hi:[1,0,0]
	v_pk_fma_f32 v[24:25], v[44:45], v[20:21], v[28:29] op_sel:[0,0,1] op_sel_hi:[1,1,0]
	v_pk_fma_f32 v[10:11], v[46:47], v[20:21], v[28:29] op_sel:[0,0,1] op_sel_hi:[0,1,0] neg_lo:[1,0,0] neg_hi:[1,0,0]
	v_mov_b32_e32 v26, v34
	v_pk_mul_f32 v[20:21], v[42:43], v[40:41]
	v_pk_mul_f32 v[12:13], v[12:13], v[38:39]
	v_mov_b32_e32 v23, v9
	v_mov_b32_e32 v25, v11
	v_fmac_f32_e32 v19, v17, v34
	v_sub_f32_e32 v10, v32, v31
	v_pk_fma_f32 v[26:27], v[14:15], v[26:27], v[20:21] neg_lo:[0,0,1] neg_hi:[0,0,1]
	v_pk_fma_f32 v[28:29], v[6:7], v[48:49], v[12:13] neg_lo:[0,0,1] neg_hi:[0,0,1]
	v_pk_add_f32 v[20:21], v[22:23], v[24:25] neg_lo:[0,1] neg_hi:[0,1]
	v_sub_f32_e32 v8, v19, v30
	v_pk_add_f32 v[6:7], v[22:23], v[24:25]
	v_pk_add_f32 v[14:15], v[26:27], v[28:29]
	v_add_f32_e32 v9, v10, v20
	v_mov_b32_e32 v6, v20
	v_add_f32_e32 v17, v9, v8
	v_add_f32_e32 v20, v7, v14
	v_mov_b32_e32 v13, v10
	v_mov_b32_e32 v12, v15
	;; [unrolled: 1-line block ×4, first 2 shown]
	v_mul_f32_e32 v34, 0x3ee1c552, v17
	v_add_f32_e32 v17, v15, v20
	v_mov_b32_e32 v15, v8
	v_pk_add_f32 v[10:11], v[10:11], v[6:7] neg_lo:[0,1] neg_hi:[0,1]
	v_pk_add_f32 v[8:9], v[6:7], v[8:9] neg_lo:[0,1] neg_hi:[0,1]
	v_pk_add_f32 v[12:13], v[14:15], v[12:13] neg_lo:[0,1] neg_hi:[0,1]
	v_pk_mul_f32 v[36:37], v[10:11], s[2:3]
	v_pk_mul_f32 v[8:9], v[8:9], s[0:1]
	;; [unrolled: 1-line block ×3, first 2 shown]
	v_add_f32_e32 v6, v18, v17
	v_mov_b32_e32 v36, v37
	v_xor_b32_e32 v37, 0x80000000, v8
	v_pk_fma_f32 v[40:41], v[10:11], s[2:3], v[8:9] neg_lo:[1,0,0] neg_hi:[1,0,0]
	v_mov_b32_e32 v8, v39
	v_fmamk_f32 v35, v17, 0xbf955555, v6
	v_pk_fma_f32 v[42:43], v[10:11], s[2:3], v[8:9]
	v_pk_fma_f32 v[44:45], v[12:13], s[6:7], v[36:37]
	v_pk_fma_f32 v[10:11], v[12:13], s[6:7], v[36:37] neg_lo:[1,0,0] neg_hi:[1,0,0]
	v_mov_b32_e32 v15, v34
	v_mov_b32_e32 v14, v35
	;; [unrolled: 1-line block ×3, first 2 shown]
	v_sub_f32_e64 v43, -v38, v9
	v_pk_add_f32 v[40:41], v[34:35], v[40:41]
	v_pk_add_f32 v[34:35], v[34:35], v[42:43]
	;; [unrolled: 1-line block ×3, first 2 shown]
	v_mov_b32_e32 v11, 2
	v_add_f32_e32 v10, v40, v41
	v_mov_b32_e32 v12, v41
	v_mov_b32_e32 v13, v35
	;; [unrolled: 1-line block ×3, first 2 shown]
	v_mul_u32_u24_e32 v7, 0x134, v33
	v_lshlrev_b32_sdwa v11, v11, v47 dst_sel:DWORD dst_unused:UNUSED_PAD src0_sel:DWORD src1_sel:BYTE_0
	s_movk_i32 s0, 0x4d
	s_movk_i32 s2, 0x4c
	v_pk_add_f32 v[8:9], v[36:37], v[34:35]
	v_pk_add_f32 v[14:15], v[12:13], v[40:41] neg_lo:[0,1] neg_hi:[0,1]
	v_sub_f32_e32 v12, v36, v34
	v_add3_u32 v33, 0, v7, v11
	v_cmp_gt_u32_e64 s[0:1], s0, v62
	v_cmp_lt_u32_e64 s[2:3], s2, v62
	ds_write2_b32 v33, v6, v8 offset1:11
	ds_write2_b32 v33, v9, v14 offset0:22 offset1:33
	ds_write2_b32 v33, v10, v15 offset0:44 offset1:55
	ds_write_b32 v33, v12 offset:264
	s_waitcnt lgkmcnt(0)
	s_barrier
	s_and_saveexec_b64 s[6:7], s[2:3]
	s_xor_b64 s[6:7], exec, s[6:7]
	s_andn2_saveexec_b64 s[6:7], s[6:7]
	s_cbranch_execz .LBB0_17
; %bb.16:
	v_add_u32_e32 v2, 0x600, v56
	ds_read2_b32 v[6:7], v56 offset1:77
	ds_read2_b32 v[12:13], v2 offset0:78 offset1:155
	ds_read2_b32 v[14:15], v56 offset0:154 offset1:231
	v_add_u32_e32 v2, 0x400, v56
	ds_read2_b32 v[10:11], v2 offset0:52 offset1:129
	ds_read_b32 v3, v56 offset:2464
	s_waitcnt lgkmcnt(3)
	v_mov_b32_e32 v2, v13
	v_mov_b32_e32 v8, v7
	s_waitcnt lgkmcnt(2)
	v_mov_b32_e32 v9, v14
	v_mov_b32_e32 v14, v15
	s_waitcnt lgkmcnt(1)
	v_mov_b32_e32 v15, v11
.LBB0_17:
	s_or_b64 exec, exec, s[6:7]
	v_mov_b32_e32 v23, v19
	v_mov_b32_e32 v25, v30
	v_pk_add_f32 v[22:23], v[22:23], v[24:25]
	v_add_f32_e32 v18, v31, v32
	v_mov_b32_e32 v20, v23
	v_pk_add_f32 v[24:25], v[22:23], v[20:21]
	v_pk_add_f32 v[26:27], v[26:27], v[28:29] neg_lo:[0,1] neg_hi:[0,1]
	v_mov_b32_e32 v25, v22
	v_sub_f32_e32 v7, v23, v18
	v_sub_f32_e32 v13, v22, v23
	v_mov_b32_e32 v20, v27
	v_pk_add_f32 v[22:23], v[18:19], v[24:25] op_sel_hi:[0,1]
	v_pk_add_f32 v[18:19], v[18:19], v[24:25] op_sel_hi:[0,1] neg_lo:[0,1] neg_hi:[0,1]
	v_add_f32_e32 v17, v27, v21
	s_mov_b32 s6, 0xbf955555
	s_mov_b32 s10, 0x3eae86e6
	v_pk_add_f32 v[28:29], v[26:27], v[20:21] neg_lo:[0,1] neg_hi:[0,1]
	v_sub_f32_e32 v30, v21, v26
	v_mov_b32_e32 v23, v19
	v_add_f32_e32 v25, v17, v26
	v_add_f32_e32 v16, v16, v22
	s_mov_b32 s7, 0xbd64c772
	v_mul_f32_e32 v17, 0x3f3bfb3b, v13
	s_mov_b32 s11, 0xbf08b237
	v_mul_f32_e32 v11, 0x3f4a47b2, v7
	v_pk_mul_f32 v[20:21], v[28:29], s[10:11]
	v_mul_f32_e32 v24, 0x3f5ff5aa, v30
	v_mul_f32_e32 v19, 0x3d64c772, v19
	v_pk_fma_f32 v[22:23], v[22:23], s[6:7], v[16:17]
	s_mov_b32 s6, 0xbf3bfb3b
	v_mul_f32_e32 v18, 0x3ee1c552, v25
	v_fmac_f32_e32 v19, 0x3f4a47b2, v7
	v_fma_f32 v26, v13, s6, -v11
	v_add_f32_e32 v7, v21, v20
	v_pk_fma_f32 v[20:21], v[28:29], s[10:11], v[24:25] op_sel_hi:[1,1,0] neg_lo:[1,0,1] neg_hi:[1,0,0]
	v_mov_b32_e32 v27, v22
	v_add_f32_e32 v11, v19, v22
	v_pk_add_f32 v[22:23], v[22:23], v[26:27]
	v_fmac_f32_e32 v7, 0x3ee1c552, v25
	v_pk_add_f32 v[18:19], v[18:19], v[20:21] op_sel_hi:[0,1]
	v_sub_f32_e32 v17, v11, v7
	v_pk_add_f32 v[20:21], v[22:23], v[18:19] neg_lo:[0,1] neg_hi:[0,1]
	v_pk_add_f32 v[22:23], v[18:19], v[22:23]
	v_add_f32_e32 v18, v7, v11
	s_waitcnt lgkmcnt(0)
	s_barrier
	ds_write2_b32 v33, v16, v17 offset1:11
	ds_write2_b32 v33, v20, v23 offset0:22 offset1:33
	ds_write2_b32 v33, v21, v22 offset0:44 offset1:55
	ds_write_b32 v33, v18 offset:264
	s_waitcnt lgkmcnt(0)
	s_barrier
	s_and_saveexec_b64 s[6:7], s[2:3]
	s_xor_b64 s[2:3], exec, s[6:7]
	s_cbranch_execnz .LBB0_21
; %bb.18:
	s_andn2_saveexec_b64 s[2:3], s[2:3]
	s_cbranch_execnz .LBB0_22
.LBB0_19:
	s_or_b64 exec, exec, s[2:3]
	s_and_b64 s[0:1], vcc, s[0:1]
	s_and_saveexec_b64 s[2:3], s[0:1]
	s_cbranch_execnz .LBB0_23
.LBB0_20:
	s_endpgm
.LBB0_21:
                                        ; implicit-def: $vgpr56
	s_andn2_saveexec_b64 s[2:3], s[2:3]
	s_cbranch_execz .LBB0_19
.LBB0_22:
	v_add_u32_e32 v5, 0x600, v56
	v_add_u32_e32 v4, 0x400, v56
	ds_read2_b32 v[18:19], v5 offset0:78 offset1:155
	ds_read2_b32 v[24:25], v4 offset0:52 offset1:129
	;; [unrolled: 1-line block ×3, first 2 shown]
	ds_read2_b32 v[16:17], v56 offset1:77
	ds_read_b32 v5, v56 offset:2464
	s_waitcnt lgkmcnt(4)
	v_mov_b32_e32 v4, v19
	s_waitcnt lgkmcnt(3)
	v_mov_b32_e32 v22, v25
	s_waitcnt lgkmcnt(2)
	v_mov_b32_e32 v23, v21
	v_mov_b32_e32 v21, v24
	s_or_b64 exec, exec, s[2:3]
	s_and_b64 s[0:1], vcc, s[0:1]
	s_and_saveexec_b64 s[2:3], s[0:1]
	s_cbranch_execz .LBB0_20
.LBB0_23:
	v_lshlrev_b32_e32 v24, 3, v62
	v_mov_b32_e32 v25, 0
	v_lshl_add_u64 v[40:41], v[24:25], 3, s[4:5]
	global_load_dwordx4 v[24:27], v[40:41], off offset:560
	global_load_dwordx4 v[28:31], v[40:41], off offset:544
	;; [unrolled: 1-line block ×4, first 2 shown]
	v_mad_u64_u32 v[40:41], s[0:1], s8, v62, 0
	v_add_u32_e32 v7, 0x4d, v62
	v_add_u32_e32 v11, 0x9a, v62
	;; [unrolled: 1-line block ×4, first 2 shown]
	v_mov_b32_e32 v44, v41
	v_mad_u64_u32 v[46:47], s[6:7], s8, v7, 0
	v_mad_u64_u32 v[48:49], s[6:7], s8, v11, 0
	;; [unrolled: 1-line block ×5, first 2 shown]
	v_mov_b32_e32 v54, v47
	v_mov_b32_e32 v56, v49
	;; [unrolled: 1-line block ×5, first 2 shown]
	v_mad_u64_u32 v[44:45], s[6:7], s9, v7, v[54:55]
	v_mad_u64_u32 v[54:55], s[6:7], s9, v11, v[56:57]
	;; [unrolled: 1-line block ×4, first 2 shown]
	s_waitcnt lgkmcnt(1)
	v_mov_b32_e32 v42, v17
	v_mov_b32_e32 v47, v44
	;; [unrolled: 1-line block ×5, first 2 shown]
	v_lshl_add_u64 v[44:45], v[46:47], 3, v[0:1]
	v_lshl_add_u64 v[46:47], v[48:49], 3, v[0:1]
	;; [unrolled: 1-line block ×4, first 2 shown]
	v_mov_b32_e32 v7, v16
	s_mov_b32 s2, 0x3f5db3d7
	v_lshl_add_u64 v[40:41], v[40:41], 3, v[0:1]
	s_mov_b32 s6, 0x3f7c1c5c
	s_mov_b32 s4, 0xbf248dbb
	;; [unrolled: 1-line block ×5, first 2 shown]
	s_waitcnt vmcnt(3)
	v_pk_mul_f32 v[52:53], v[22:23], v[24:25] op_sel_hi:[0,1]
	s_waitcnt vmcnt(2)
	v_pk_mul_f32 v[54:55], v[20:21], v[30:31] op_sel:[1,0]
	s_waitcnt vmcnt(1) lgkmcnt(0)
	v_pk_mul_f32 v[56:57], v[4:5], v[32:33] op_sel_hi:[0,1]
	s_waitcnt vmcnt(0)
	v_pk_mul_f32 v[20:21], v[20:21], v[38:39] op_sel_hi:[0,1]
	v_pk_mul_f32 v[18:19], v[18:19], v[26:27] op_sel_hi:[0,1]
	v_pk_mul_f32 v[22:23], v[22:23], v[28:29] op_sel:[1,0]
	v_pk_mul_f32 v[4:5], v[4:5], v[34:35] op_sel:[1,0]
	v_pk_mul_f32 v[42:43], v[42:43], v[36:37] op_sel_hi:[0,1]
	v_pk_fma_f32 v[58:59], v[14:15], v[24:25], v[52:53] op_sel:[1,0,1] op_sel_hi:[1,1,0] neg_lo:[0,0,1] neg_hi:[0,0,1]
	v_pk_fma_f32 v[24:25], v[14:15], v[24:25], v[52:53] op_sel:[1,0,1] op_sel_hi:[1,1,0]
	v_pk_fma_f32 v[52:53], v[10:11], v[30:31], v[54:55] op_sel:[0,0,1] op_sel_hi:[1,1,0] neg_lo:[0,0,1] neg_hi:[0,0,1]
	v_pk_fma_f32 v[10:11], v[10:11], v[30:31], v[54:55] op_sel:[0,0,1] op_sel_hi:[0,1,0]
	;; [unrolled: 2-line block ×8, first 2 shown]
	v_mov_b32_e32 v31, v33
	v_mov_b32_e32 v55, v21
	;; [unrolled: 1-line block ×8, first 2 shown]
	v_pk_add_f32 v[2:3], v[4:5], v[22:23] neg_lo:[0,1] neg_hi:[0,1]
	v_pk_add_f32 v[24:25], v[54:55], v[30:31]
	v_pk_add_f32 v[4:5], v[4:5], v[22:23]
	v_pk_add_f32 v[8:9], v[18:19], v[38:39] neg_lo:[0,1] neg_hi:[0,1]
	v_pk_add_f32 v[10:11], v[54:55], v[30:31] neg_lo:[0,1] neg_hi:[0,1]
	v_pk_add_f32 v[20:21], v[52:53], v[58:59]
	v_pk_add_f32 v[18:19], v[18:19], v[38:39]
	;; [unrolled: 1-line block ×3, first 2 shown]
	v_pk_add_f32 v[12:13], v[52:53], v[58:59] neg_lo:[0,1] neg_hi:[0,1]
	v_pk_add_f32 v[38:39], v[30:31], v[20:21]
	v_pk_add_f32 v[30:31], v[18:19], v[30:31]
	v_pk_add_f32 v[32:33], v[2:3], v[12:13] op_sel:[1,1] op_sel_hi:[0,0]
	v_pk_add_f32 v[30:31], v[52:53], v[30:31]
	v_pk_add_f32 v[36:37], v[6:7], v[18:19]
	;; [unrolled: 1-line block ×3, first 2 shown]
	v_pk_add_f32 v[32:33], v[32:33], v[10:11] op_sel:[0,1] op_sel_hi:[1,0] neg_lo:[0,1] neg_hi:[0,1]
	v_pk_fma_f32 v[36:37], v[38:39], 0.5, v[36:37] op_sel_hi:[1,0,1] neg_lo:[1,0,0] neg_hi:[1,0,0]
	v_pk_add_f32 v[30:31], v[6:7], v[30:31]
	v_pk_mul_f32 v[8:9], v[8:9], s[2:3] op_sel_hi:[1,0]
	v_pk_mul_f32 v[14:15], v[12:13], s[6:7] op_sel:[1,0] op_sel_hi:[0,0]
	v_pk_mul_f32 v[34:35], v[32:33], s[2:3] op_sel_hi:[1,0]
	v_pk_fma_f32 v[38:39], v[32:33], s[2:3], v[36:37] op_sel_hi:[1,0,1]
	v_pk_fma_f32 v[32:33], v[32:33], s[2:3], v[36:37] op_sel_hi:[1,0,1] neg_lo:[1,0,0] neg_hi:[1,0,0]
	global_store_dwordx2 v[40:41], v[30:31], off
	s_mov_b32 s2, 0x3f248dbb
	v_pk_mul_f32 v[30:31], v[10:11], s[6:7] op_sel:[1,0] op_sel_hi:[0,0]
	v_pk_fma_f32 v[14:15], v[10:11], s[4:5], v[14:15] op_sel:[1,0,0] op_sel_hi:[0,0,1] neg_lo:[0,0,1] neg_hi:[0,0,1]
	s_mov_b32 s4, 0x3e31d0d4
	v_pk_fma_f32 v[26:27], v[24:25], s[10:11], v[6:7] op_sel_hi:[1,0,1]
	v_pk_fma_f32 v[30:31], v[2:3], s[2:3], v[30:31] op_sel:[1,0,0] op_sel_hi:[0,0,1]
	v_pk_fma_f32 v[26:27], v[20:21], s[4:5], v[26:27] op_sel_hi:[1,0,1]
	v_pk_add_f32 v[30:31], v[8:9], v[30:31] op_sel:[1,0] op_sel_hi:[0,1]
	v_pk_add_f32 v[14:15], v[8:9], v[14:15] op_sel:[1,0] op_sel_hi:[0,1]
	v_pk_fma_f32 v[26:27], v[18:19], 0.5, v[26:27] op_sel_hi:[1,0,1] neg_lo:[1,0,0] neg_hi:[1,0,0]
	v_pk_fma_f32 v[30:31], v[12:13], s[0:1], v[30:31] op_sel:[1,0,0] op_sel_hi:[0,0,1]
	v_pk_fma_f32 v[52:53], v[4:5], s[10:11], v[6:7] op_sel_hi:[1,0,1]
	v_pk_mul_f32 v[12:13], v[12:13], s[2:3] op_sel:[1,0] op_sel_hi:[0,0]
	v_pk_fma_f32 v[6:7], v[20:21], s[10:11], v[6:7] op_sel_hi:[1,0,1]
	v_pk_fma_f32 v[14:15], v[2:3], s[0:1], v[14:15] op_sel:[1,0,0] op_sel_hi:[0,0,1]
	v_pk_fma_f32 v[22:23], v[4:5], s[12:13], v[26:27] op_sel_hi:[1,0,1] neg_lo:[1,0,0] neg_hi:[1,0,0]
	v_pk_fma_f32 v[2:3], v[2:3], s[6:7], v[12:13] op_sel:[1,0,0] op_sel_hi:[0,0,1] neg_lo:[0,0,1] neg_hi:[0,0,1]
	v_pk_fma_f32 v[4:5], v[4:5], s[4:5], v[6:7] op_sel_hi:[1,0,1]
	v_pk_add_f32 v[2:3], v[2:3], v[8:9] op_sel:[0,1] op_sel_hi:[1,0] neg_lo:[0,1] neg_hi:[0,1]
	v_pk_fma_f32 v[4:5], v[18:19], 0.5, v[4:5] op_sel_hi:[1,0,1] neg_lo:[1,0,0] neg_hi:[1,0,0]
	v_pk_fma_f32 v[2:3], v[10:11], s[0:1], v[2:3] op_sel:[1,0,0] op_sel_hi:[0,0,1]
	v_pk_fma_f32 v[4:5], v[24:25], s[12:13], v[4:5] op_sel_hi:[1,0,1] neg_lo:[1,0,0] neg_hi:[1,0,0]
	v_add_f32_e32 v9, v3, v3
	v_pk_add_f32 v[6:7], v[4:5], v[2:3]
	v_pk_add_f32 v[4:5], v[4:5], v[2:3] neg_lo:[0,1] neg_hi:[0,1]
	v_add_u32_e32 v3, 0x181, v62
	v_pk_fma_f32 v[52:53], v[24:25], s[4:5], v[52:53] op_sel_hi:[1,0,1]
	v_mad_u64_u32 v[12:13], s[0:1], s8, v3, 0
	v_pk_add_f32 v[26:27], v[22:23], v[14:15]
	v_pk_add_f32 v[22:23], v[22:23], v[14:15] neg_lo:[0,1] neg_hi:[0,1]
	v_pk_fma_f32 v[52:53], v[18:19], 0.5, v[52:53] op_sel_hi:[1,0,1] neg_lo:[1,0,0] neg_hi:[1,0,0]
	v_mov_b32_e32 v8, v13
	v_add_f32_e32 v17, v15, v15
	v_add_f32_e32 v14, v14, v14
	v_pk_fma_f32 v[52:53], v[20:21], s[12:13], v[52:53] op_sel_hi:[1,0,1] neg_lo:[1,0,0] neg_hi:[1,0,0]
	v_mad_u64_u32 v[18:19], s[0:1], s9, v3, v[8:9]
	v_mov_b32_e32 v16, v26
	v_mov_b32_e32 v15, v23
	v_pk_add_f32 v[54:55], v[52:53], v[30:31]
	v_pk_add_f32 v[52:53], v[52:53], v[30:31] neg_lo:[0,1] neg_hi:[0,1]
	v_mov_b32_e32 v13, v18
	v_pk_add_f32 v[14:15], v[26:27], v[14:15] neg_lo:[0,1] neg_hi:[0,1]
	v_pk_add_f32 v[16:17], v[16:17], v[22:23]
	v_mov_b32_e32 v56, v54
	v_mov_b32_e32 v57, v53
	;; [unrolled: 1-line block ×4, first 2 shown]
	v_lshl_add_u64 v[12:13], v[12:13], 3, v[0:1]
	v_mov_b32_e32 v15, v17
	v_add_u32_e32 v3, 0x1ce, v62
	v_mov_b32_e32 v28, v26
	v_mov_b32_e32 v29, v23
	;; [unrolled: 1-line block ×4, first 2 shown]
	global_store_dwordx2 v[44:45], v[56:57], off
	global_store_dwordx2 v[46:47], v[10:11], off
	;; [unrolled: 1-line block ×5, first 2 shown]
	v_mad_u64_u32 v[12:13], s[0:1], s8, v3, 0
	v_mov_b32_e32 v8, v13
	v_add_f32_e32 v35, v35, v35
	v_add_f32_e32 v42, v34, v34
	v_mad_u64_u32 v[14:15], s[0:1], s9, v3, v[8:9]
	v_mov_b32_e32 v34, v38
	v_mov_b32_e32 v43, v33
	;; [unrolled: 1-line block ×3, first 2 shown]
	v_pk_add_f32 v[14:15], v[38:39], v[42:43] neg_lo:[0,1] neg_hi:[0,1]
	v_pk_add_f32 v[16:17], v[34:35], v[32:33]
	v_lshl_add_u64 v[12:13], v[12:13], 3, v[0:1]
	v_mov_b32_e32 v15, v17
	v_add_u32_e32 v3, 0x21b, v62
	global_store_dwordx2 v[12:13], v[14:15], off
	v_mad_u64_u32 v[12:13], s[0:1], s8, v3, 0
	v_mov_b32_e32 v8, v13
	v_add_f32_e32 v2, v2, v2
	v_mad_u64_u32 v[14:15], s[0:1], s9, v3, v[8:9]
	v_mov_b32_e32 v8, v6
	v_mov_b32_e32 v3, v5
	v_mov_b32_e32 v13, v14
	v_pk_add_f32 v[2:3], v[6:7], v[2:3] neg_lo:[0,1] neg_hi:[0,1]
	v_pk_add_f32 v[4:5], v[8:9], v[4:5]
	v_lshl_add_u64 v[12:13], v[12:13], 3, v[0:1]
	v_mov_b32_e32 v3, v5
	v_add_u32_e32 v5, 0x268, v62
	global_store_dwordx2 v[12:13], v[2:3], off
	v_mad_u64_u32 v[2:3], s[0:1], s8, v5, 0
	v_mov_b32_e32 v4, v3
	v_mad_u64_u32 v[4:5], s[0:1], s9, v5, v[4:5]
	v_add_f32_e32 v41, v31, v31
	v_add_f32_e32 v30, v30, v30
	v_mov_b32_e32 v3, v4
	v_mov_b32_e32 v40, v54
	;; [unrolled: 1-line block ×3, first 2 shown]
	v_lshl_add_u64 v[0:1], v[2:3], 3, v[0:1]
	v_pk_add_f32 v[2:3], v[54:55], v[30:31] neg_lo:[0,1] neg_hi:[0,1]
	v_pk_add_f32 v[4:5], v[40:41], v[52:53]
	s_nop 0
	v_mov_b32_e32 v3, v5
	global_store_dwordx2 v[0:1], v[2:3], off
	s_endpgm
	.section	.rodata,"a",@progbits
	.p2align	6, 0x0
	.amdhsa_kernel fft_rtc_fwd_len693_factors_11_7_9_wgs_99_tpt_99_halfLds_sp_ip_CI_sbrr_dirReg
		.amdhsa_group_segment_fixed_size 0
		.amdhsa_private_segment_fixed_size 0
		.amdhsa_kernarg_size 88
		.amdhsa_user_sgpr_count 2
		.amdhsa_user_sgpr_dispatch_ptr 0
		.amdhsa_user_sgpr_queue_ptr 0
		.amdhsa_user_sgpr_kernarg_segment_ptr 1
		.amdhsa_user_sgpr_dispatch_id 0
		.amdhsa_user_sgpr_kernarg_preload_length 0
		.amdhsa_user_sgpr_kernarg_preload_offset 0
		.amdhsa_user_sgpr_private_segment_size 0
		.amdhsa_uses_dynamic_stack 0
		.amdhsa_enable_private_segment 0
		.amdhsa_system_sgpr_workgroup_id_x 1
		.amdhsa_system_sgpr_workgroup_id_y 0
		.amdhsa_system_sgpr_workgroup_id_z 0
		.amdhsa_system_sgpr_workgroup_info 0
		.amdhsa_system_vgpr_workitem_id 0
		.amdhsa_next_free_vgpr 92
		.amdhsa_next_free_sgpr 46
		.amdhsa_accum_offset 92
		.amdhsa_reserve_vcc 1
		.amdhsa_float_round_mode_32 0
		.amdhsa_float_round_mode_16_64 0
		.amdhsa_float_denorm_mode_32 3
		.amdhsa_float_denorm_mode_16_64 3
		.amdhsa_dx10_clamp 1
		.amdhsa_ieee_mode 1
		.amdhsa_fp16_overflow 0
		.amdhsa_tg_split 0
		.amdhsa_exception_fp_ieee_invalid_op 0
		.amdhsa_exception_fp_denorm_src 0
		.amdhsa_exception_fp_ieee_div_zero 0
		.amdhsa_exception_fp_ieee_overflow 0
		.amdhsa_exception_fp_ieee_underflow 0
		.amdhsa_exception_fp_ieee_inexact 0
		.amdhsa_exception_int_div_zero 0
	.end_amdhsa_kernel
	.text
.Lfunc_end0:
	.size	fft_rtc_fwd_len693_factors_11_7_9_wgs_99_tpt_99_halfLds_sp_ip_CI_sbrr_dirReg, .Lfunc_end0-fft_rtc_fwd_len693_factors_11_7_9_wgs_99_tpt_99_halfLds_sp_ip_CI_sbrr_dirReg
                                        ; -- End function
	.section	.AMDGPU.csdata,"",@progbits
; Kernel info:
; codeLenInByte = 7004
; NumSgprs: 52
; NumVgprs: 92
; NumAgprs: 0
; TotalNumVgprs: 92
; ScratchSize: 0
; MemoryBound: 0
; FloatMode: 240
; IeeeMode: 1
; LDSByteSize: 0 bytes/workgroup (compile time only)
; SGPRBlocks: 6
; VGPRBlocks: 11
; NumSGPRsForWavesPerEU: 52
; NumVGPRsForWavesPerEU: 92
; AccumOffset: 92
; Occupancy: 5
; WaveLimiterHint : 1
; COMPUTE_PGM_RSRC2:SCRATCH_EN: 0
; COMPUTE_PGM_RSRC2:USER_SGPR: 2
; COMPUTE_PGM_RSRC2:TRAP_HANDLER: 0
; COMPUTE_PGM_RSRC2:TGID_X_EN: 1
; COMPUTE_PGM_RSRC2:TGID_Y_EN: 0
; COMPUTE_PGM_RSRC2:TGID_Z_EN: 0
; COMPUTE_PGM_RSRC2:TIDIG_COMP_CNT: 0
; COMPUTE_PGM_RSRC3_GFX90A:ACCUM_OFFSET: 22
; COMPUTE_PGM_RSRC3_GFX90A:TG_SPLIT: 0
	.text
	.p2alignl 6, 3212836864
	.fill 256, 4, 3212836864
	.type	__hip_cuid_9f013a35481bb81f,@object ; @__hip_cuid_9f013a35481bb81f
	.section	.bss,"aw",@nobits
	.globl	__hip_cuid_9f013a35481bb81f
__hip_cuid_9f013a35481bb81f:
	.byte	0                               ; 0x0
	.size	__hip_cuid_9f013a35481bb81f, 1

	.ident	"AMD clang version 19.0.0git (https://github.com/RadeonOpenCompute/llvm-project roc-6.4.0 25133 c7fe45cf4b819c5991fe208aaa96edf142730f1d)"
	.section	".note.GNU-stack","",@progbits
	.addrsig
	.addrsig_sym __hip_cuid_9f013a35481bb81f
	.amdgpu_metadata
---
amdhsa.kernels:
  - .agpr_count:     0
    .args:
      - .actual_access:  read_only
        .address_space:  global
        .offset:         0
        .size:           8
        .value_kind:     global_buffer
      - .offset:         8
        .size:           8
        .value_kind:     by_value
      - .actual_access:  read_only
        .address_space:  global
        .offset:         16
        .size:           8
        .value_kind:     global_buffer
      - .actual_access:  read_only
        .address_space:  global
        .offset:         24
        .size:           8
        .value_kind:     global_buffer
      - .offset:         32
        .size:           8
        .value_kind:     by_value
      - .actual_access:  read_only
        .address_space:  global
        .offset:         40
        .size:           8
        .value_kind:     global_buffer
      - .actual_access:  read_only
        .address_space:  global
        .offset:         48
        .size:           8
        .value_kind:     global_buffer
      - .offset:         56
        .size:           4
        .value_kind:     by_value
      - .actual_access:  read_only
        .address_space:  global
        .offset:         64
        .size:           8
        .value_kind:     global_buffer
      - .actual_access:  read_only
        .address_space:  global
        .offset:         72
        .size:           8
        .value_kind:     global_buffer
      - .address_space:  global
        .offset:         80
        .size:           8
        .value_kind:     global_buffer
    .group_segment_fixed_size: 0
    .kernarg_segment_align: 8
    .kernarg_segment_size: 88
    .language:       OpenCL C
    .language_version:
      - 2
      - 0
    .max_flat_workgroup_size: 99
    .name:           fft_rtc_fwd_len693_factors_11_7_9_wgs_99_tpt_99_halfLds_sp_ip_CI_sbrr_dirReg
    .private_segment_fixed_size: 0
    .sgpr_count:     52
    .sgpr_spill_count: 0
    .symbol:         fft_rtc_fwd_len693_factors_11_7_9_wgs_99_tpt_99_halfLds_sp_ip_CI_sbrr_dirReg.kd
    .uniform_work_group_size: 1
    .uses_dynamic_stack: false
    .vgpr_count:     92
    .vgpr_spill_count: 0
    .wavefront_size: 64
amdhsa.target:   amdgcn-amd-amdhsa--gfx950
amdhsa.version:
  - 1
  - 2
...

	.end_amdgpu_metadata
